;; amdgpu-corpus repo=ROCm/rocFFT kind=compiled arch=gfx906 opt=O3
	.text
	.amdgcn_target "amdgcn-amd-amdhsa--gfx906"
	.amdhsa_code_object_version 6
	.protected	bluestein_single_fwd_len280_dim1_sp_op_CI_CI ; -- Begin function bluestein_single_fwd_len280_dim1_sp_op_CI_CI
	.globl	bluestein_single_fwd_len280_dim1_sp_op_CI_CI
	.p2align	8
	.type	bluestein_single_fwd_len280_dim1_sp_op_CI_CI,@function
bluestein_single_fwd_len280_dim1_sp_op_CI_CI: ; @bluestein_single_fwd_len280_dim1_sp_op_CI_CI
; %bb.0:
	s_load_dwordx4 s[0:3], s[4:5], 0x28
	v_mul_u32_u24_e32 v1, 0x493, v0
	v_add_u32_sdwa v36, s6, v1 dst_sel:DWORD dst_unused:UNUSED_PAD src0_sel:DWORD src1_sel:WORD_1
	v_mov_b32_e32 v37, 0
	s_waitcnt lgkmcnt(0)
	v_cmp_gt_u64_e32 vcc, s[0:1], v[36:37]
	s_and_saveexec_b64 s[0:1], vcc
	s_cbranch_execz .LBB0_23
; %bb.1:
	s_load_dwordx2 s[14:15], s[4:5], 0x0
	s_load_dwordx2 s[12:13], s[4:5], 0x38
	v_mov_b32_e32 v2, 56
	v_mul_lo_u16_sdwa v1, v1, v2 dst_sel:DWORD dst_unused:UNUSED_PAD src0_sel:WORD_1 src1_sel:DWORD
	v_sub_u16_e32 v38, v0, v1
	v_cmp_gt_u16_e32 vcc, 35, v38
	v_lshlrev_b32_e32 v37, 3, v38
	s_and_saveexec_b64 s[6:7], vcc
	s_cbranch_execz .LBB0_3
; %bb.2:
	s_load_dwordx2 s[0:1], s[4:5], 0x18
	s_waitcnt lgkmcnt(0)
	s_load_dwordx4 s[8:11], s[0:1], 0x0
	s_waitcnt lgkmcnt(0)
	v_mad_u64_u32 v[0:1], s[0:1], s10, v36, 0
	v_mad_u64_u32 v[2:3], s[0:1], s8, v38, 0
	;; [unrolled: 1-line block ×4, first 2 shown]
	v_mov_b32_e32 v1, v4
	v_lshlrev_b64 v[0:1], 3, v[0:1]
	v_mov_b32_e32 v3, v5
	v_mov_b32_e32 v6, s3
	v_lshlrev_b64 v[2:3], 3, v[2:3]
	v_add_co_u32_e64 v0, s[0:1], s2, v0
	v_addc_co_u32_e64 v1, s[0:1], v6, v1, s[0:1]
	v_add_co_u32_e64 v0, s[0:1], v0, v2
	v_addc_co_u32_e64 v1, s[0:1], v1, v3, s[0:1]
	s_mul_i32 s0, s9, 0x118
	s_mul_hi_u32 s1, s8, 0x118
	s_mul_i32 s2, s8, 0x118
	s_add_i32 s3, s1, s0
	global_load_dwordx2 v[2:3], v[0:1], off
	v_mov_b32_e32 v4, s3
	v_add_co_u32_e64 v0, s[0:1], s2, v0
	v_addc_co_u32_e64 v1, s[0:1], v1, v4, s[0:1]
	v_mov_b32_e32 v5, s3
	v_add_co_u32_e64 v4, s[0:1], s2, v0
	v_addc_co_u32_e64 v5, s[0:1], v1, v5, s[0:1]
	;; [unrolled: 3-line block ×3, first 2 shown]
	global_load_dwordx2 v[6:7], v37, s[14:15]
	global_load_dwordx2 v[8:9], v37, s[14:15] offset:280
	global_load_dwordx2 v[10:11], v37, s[14:15] offset:560
	;; [unrolled: 1-line block ×3, first 2 shown]
	v_mov_b32_e32 v22, s3
	global_load_dwordx2 v[16:17], v[0:1], off
	global_load_dwordx2 v[18:19], v[4:5], off
	global_load_dwordx2 v[20:21], v[14:15], off
	v_add_co_u32_e64 v0, s[0:1], s2, v14
	v_addc_co_u32_e64 v1, s[0:1], v15, v22, s[0:1]
	v_mov_b32_e32 v23, s3
	v_add_co_u32_e64 v4, s[0:1], s2, v0
	v_addc_co_u32_e64 v5, s[0:1], v1, v23, s[0:1]
	v_mov_b32_e32 v28, s3
	global_load_dwordx2 v[14:15], v[0:1], off
	global_load_dwordx2 v[22:23], v37, s[14:15] offset:1120
	global_load_dwordx2 v[24:25], v[4:5], off
	global_load_dwordx2 v[26:27], v37, s[14:15] offset:1400
	v_add_co_u32_e64 v0, s[0:1], s2, v4
	v_addc_co_u32_e64 v1, s[0:1], v5, v28, s[0:1]
	v_mov_b32_e32 v30, s3
	global_load_dwordx2 v[4:5], v[0:1], off
	global_load_dwordx2 v[28:29], v37, s[14:15] offset:1680
	v_add_co_u32_e64 v0, s[0:1], s2, v0
	v_addc_co_u32_e64 v1, s[0:1], v1, v30, s[0:1]
	global_load_dwordx2 v[30:31], v37, s[14:15] offset:1960
	global_load_dwordx2 v[32:33], v[0:1], off
	s_waitcnt vmcnt(14)
	v_mul_f32_e32 v1, v2, v7
	v_mul_f32_e32 v0, v3, v7
	v_fma_f32 v1, v3, v6, -v1
	v_fmac_f32_e32 v0, v2, v6
	s_waitcnt vmcnt(10)
	v_mul_f32_e32 v3, v16, v9
	v_mul_f32_e32 v2, v17, v9
	v_fma_f32 v3, v17, v8, -v3
	v_fmac_f32_e32 v2, v16, v8
	s_waitcnt vmcnt(9)
	v_mul_f32_e32 v7, v18, v11
	v_mul_f32_e32 v6, v19, v11
	ds_write2_b64 v37, v[0:1], v[2:3] offset1:35
	s_waitcnt vmcnt(8)
	v_mul_f32_e32 v1, v20, v13
	v_mul_f32_e32 v0, v21, v13
	v_fma_f32 v7, v19, v10, -v7
	v_fmac_f32_e32 v6, v18, v10
	v_fma_f32 v1, v21, v12, -v1
	v_fmac_f32_e32 v0, v20, v12
	s_waitcnt vmcnt(6)
	v_mul_f32_e32 v2, v15, v23
	v_mul_f32_e32 v3, v14, v23
	ds_write2_b64 v37, v[6:7], v[0:1] offset0:70 offset1:105
	s_waitcnt vmcnt(4)
	v_mul_f32_e32 v0, v25, v27
	v_mul_f32_e32 v1, v24, v27
	v_fmac_f32_e32 v2, v14, v22
	v_fma_f32 v3, v15, v22, -v3
	v_fmac_f32_e32 v0, v24, v26
	v_fma_f32 v1, v25, v26, -v1
	s_waitcnt vmcnt(2)
	v_mul_f32_e32 v6, v5, v29
	v_mul_f32_e32 v7, v4, v29
	ds_write2_b64 v37, v[2:3], v[0:1] offset0:140 offset1:175
	s_waitcnt vmcnt(0)
	v_mul_f32_e32 v0, v33, v31
	v_mul_f32_e32 v1, v32, v31
	v_fmac_f32_e32 v6, v4, v28
	v_fma_f32 v7, v5, v28, -v7
	v_fmac_f32_e32 v0, v32, v30
	v_fma_f32 v1, v33, v30, -v1
	ds_write2_b64 v37, v[6:7], v[0:1] offset0:210 offset1:245
.LBB0_3:
	s_or_b64 exec, exec, s[6:7]
	s_waitcnt lgkmcnt(0)
	; wave barrier
	s_waitcnt lgkmcnt(0)
                                        ; implicit-def: $vgpr10
                                        ; implicit-def: $vgpr14
                                        ; implicit-def: $vgpr2
                                        ; implicit-def: $vgpr6
	s_and_saveexec_b64 s[0:1], vcc
	s_cbranch_execz .LBB0_5
; %bb.4:
	ds_read2_b64 v[4:7], v37 offset1:35
	ds_read2_b64 v[0:3], v37 offset0:70 offset1:105
	ds_read2_b64 v[12:15], v37 offset0:140 offset1:175
	;; [unrolled: 1-line block ×3, first 2 shown]
.LBB0_5:
	s_or_b64 exec, exec, s[0:1]
	s_waitcnt lgkmcnt(0)
	v_sub_f32_e32 v12, v4, v12
	v_sub_f32_e32 v13, v5, v13
	;; [unrolled: 1-line block ×4, first 2 shown]
	v_fma_f32 v0, v0, 2.0, -v8
	v_fma_f32 v1, v1, 2.0, -v9
	v_sub_f32_e32 v14, v6, v14
	v_sub_f32_e32 v15, v7, v15
	v_sub_f32_e32 v10, v2, v10
	v_sub_f32_e32 v11, v3, v11
	v_sub_f32_e32 v9, v12, v9
	v_add_f32_e32 v8, v8, v13
	v_fma_f32 v4, v4, 2.0, -v12
	v_fma_f32 v5, v5, 2.0, -v13
	;; [unrolled: 1-line block ×6, first 2 shown]
	v_sub_f32_e32 v11, v14, v11
	v_add_f32_e32 v10, v10, v15
	v_fma_f32 v6, v6, 2.0, -v14
	v_fma_f32 v7, v7, 2.0, -v15
	;; [unrolled: 1-line block ×4, first 2 shown]
	v_mov_b32_e32 v22, v12
	v_mov_b32_e32 v23, v13
	s_load_dwordx2 s[2:3], s[4:5], 0x8
	v_fmac_f32_e32 v22, 0xbf3504f3, v14
	v_fmac_f32_e32 v23, 0xbf3504f3, v15
	v_sub_f32_e32 v0, v4, v0
	v_sub_f32_e32 v1, v5, v1
	;; [unrolled: 1-line block ×4, first 2 shown]
	v_fmac_f32_e32 v22, 0xbf3504f3, v15
	v_fmac_f32_e32 v23, 0x3f3504f3, v14
	v_mov_b32_e32 v14, v9
	v_mov_b32_e32 v15, v8
	v_fma_f32 v4, v4, 2.0, -v0
	v_fma_f32 v5, v5, 2.0, -v1
	;; [unrolled: 1-line block ×4, first 2 shown]
	v_fmac_f32_e32 v14, 0x3f3504f3, v11
	v_fmac_f32_e32 v15, 0x3f3504f3, v10
	v_sub_f32_e32 v20, v4, v6
	v_sub_f32_e32 v21, v5, v7
	v_fma_f32 v18, v12, 2.0, -v22
	v_fma_f32 v19, v13, 2.0, -v23
	v_sub_f32_e32 v12, v0, v3
	v_add_f32_e32 v13, v2, v1
	v_fmac_f32_e32 v14, 0xbf3504f3, v10
	v_fmac_f32_e32 v15, 0x3f3504f3, v11
	v_fma_f32 v16, v4, 2.0, -v20
	v_fma_f32 v17, v5, 2.0, -v21
	;; [unrolled: 1-line block ×6, first 2 shown]
	v_lshlrev_b16_e32 v40, 3, v38
	s_waitcnt lgkmcnt(0)
	; wave barrier
	s_waitcnt lgkmcnt(0)
	s_and_saveexec_b64 s[0:1], vcc
	s_cbranch_execz .LBB0_7
; %bb.6:
	v_lshlrev_b32_e32 v0, 3, v40
	ds_write_b128 v0, v[16:19]
	ds_write_b128 v0, v[24:27] offset:16
	ds_write_b128 v0, v[20:23] offset:32
	;; [unrolled: 1-line block ×3, first 2 shown]
.LBB0_7:
	s_or_b64 exec, exec, s[0:1]
	s_load_dwordx2 s[4:5], s[4:5], 0x20
	v_cmp_gt_u16_e64 s[0:1], 40, v38
	s_waitcnt lgkmcnt(0)
	; wave barrier
	s_waitcnt lgkmcnt(0)
	s_and_saveexec_b64 s[6:7], s[0:1]
	s_cbranch_execz .LBB0_9
; %bb.8:
	ds_read2_b64 v[16:19], v37 offset1:40
	ds_read2_b64 v[24:27], v37 offset0:80 offset1:120
	ds_read2_b64 v[20:23], v37 offset0:160 offset1:200
	ds_read_b64 v[12:13], v37 offset:1920
.LBB0_9:
	s_or_b64 exec, exec, s[6:7]
	v_and_b32_e32 v39, 7, v38
	v_mul_u32_u24_e32 v0, 6, v39
	v_lshlrev_b32_e32 v28, 3, v0
	global_load_dwordx4 v[0:3], v28, s[2:3]
	global_load_dwordx4 v[4:7], v28, s[2:3] offset:16
	global_load_dwordx4 v[8:11], v28, s[2:3] offset:32
	s_mov_b32 s6, 0xbf3bfb3b
	s_mov_b32 s7, 0xbeae86e6
	s_waitcnt lgkmcnt(0)
	; wave barrier
	s_waitcnt vmcnt(2) lgkmcnt(0)
	v_mul_f32_e32 v28, v25, v3
	v_mul_f32_e32 v29, v24, v3
	s_waitcnt vmcnt(1)
	v_mul_f32_e32 v33, v20, v7
	s_waitcnt vmcnt(0)
	v_mul_f32_e32 v34, v23, v9
	v_mul_f32_e32 v35, v22, v9
	v_mul_f32_e32 v41, v19, v1
	v_mul_f32_e32 v42, v18, v1
	v_mul_f32_e32 v43, v13, v11
	v_mul_f32_e32 v44, v12, v11
	v_mul_f32_e32 v30, v27, v5
	v_mul_f32_e32 v31, v26, v5
	v_mul_f32_e32 v32, v21, v7
	v_fma_f32 v24, v24, v2, -v28
	v_fmac_f32_e32 v29, v25, v2
	v_fmac_f32_e32 v33, v21, v6
	v_fma_f32 v21, v22, v8, -v34
	v_fmac_f32_e32 v35, v23, v8
	v_fma_f32 v18, v18, v0, -v41
	;; [unrolled: 2-line block ×5, first 2 shown]
	v_add_f32_e32 v13, v18, v12
	v_add_f32_e32 v19, v24, v21
	;; [unrolled: 1-line block ×6, first 2 shown]
	v_sub_f32_e32 v12, v18, v12
	v_sub_f32_e32 v24, v24, v21
	;; [unrolled: 1-line block ×5, first 2 shown]
	v_add_f32_e32 v31, v19, v13
	v_add_f32_e32 v32, v26, v23
	v_sub_f32_e32 v28, v42, v44
	v_sub_f32_e32 v18, v19, v13
	;; [unrolled: 1-line block ×6, first 2 shown]
	v_add_f32_e32 v26, v25, v24
	v_sub_f32_e32 v33, v25, v24
	v_sub_f32_e32 v35, v12, v25
	;; [unrolled: 1-line block ×3, first 2 shown]
	v_add_f32_e32 v24, v30, v29
	v_sub_f32_e32 v34, v30, v29
	v_add_f32_e32 v43, v22, v31
	v_add_f32_e32 v27, v27, v32
	v_sub_f32_e32 v13, v13, v22
	v_sub_f32_e32 v41, v28, v30
	;; [unrolled: 1-line block ×3, first 2 shown]
	v_add_f32_e32 v30, v24, v28
	v_mul_f32_e32 v24, 0xbf08b237, v33
	v_mul_f32_e32 v22, 0xbf08b237, v34
	v_add_f32_e32 v16, v16, v43
	v_add_f32_e32 v17, v17, v27
	;; [unrolled: 1-line block ×3, first 2 shown]
	v_mul_f32_e32 v12, 0x3f4a47b2, v13
	v_mul_f32_e32 v13, 0x3f4a47b2, v23
	;; [unrolled: 1-line block ×4, first 2 shown]
	v_mov_b32_e32 v23, v24
	v_mov_b32_e32 v28, v22
	v_mov_b32_e32 v34, v16
	v_mov_b32_e32 v42, v17
	v_fma_f32 v26, v18, s6, -v12
	v_fmac_f32_e32 v12, 0x3d64c772, v20
	v_fma_f32 v45, v19, s6, -v13
	v_fmac_f32_e32 v13, 0x3d64c772, v21
	v_fma_f32 v32, v35, s7, -v31
	v_fma_f32 v33, v41, s7, -v25
	v_fmac_f32_e32 v23, 0x3eae86e6, v35
	v_fmac_f32_e32 v28, 0x3eae86e6, v41
	;; [unrolled: 1-line block ×6, first 2 shown]
	v_add_f32_e32 v35, v12, v34
	v_add_f32_e32 v43, v13, v42
	;; [unrolled: 1-line block ×4, first 2 shown]
	v_fmac_f32_e32 v32, 0x3ee1c552, v29
	v_fmac_f32_e32 v33, 0x3ee1c552, v30
	v_sub_f32_e32 v26, v44, v33
	v_add_f32_e32 v27, v32, v45
	v_sub_f32_e32 v12, v35, v28
	v_add_f32_e32 v13, v23, v43
	v_lshrrev_b32_e32 v41, 3, v38
	s_and_saveexec_b64 s[6:7], s[0:1]
	s_cbranch_execz .LBB0_11
; %bb.10:
	v_mul_f32_e32 v20, 0x3d64c772, v20
	v_mul_f32_e32 v18, 0x3f3bfb3b, v18
	;; [unrolled: 1-line block ×3, first 2 shown]
	v_sub_f32_e32 v22, v25, v22
	v_sub_f32_e32 v18, v18, v20
	v_mul_f32_e32 v21, 0x3d64c772, v21
	v_mul_f32_e32 v19, 0x3f3bfb3b, v19
	v_add_f32_e32 v22, v30, v22
	v_add_f32_e32 v20, v18, v34
	v_sub_f32_e32 v19, v19, v21
	v_add_f32_e32 v18, v22, v20
	v_sub_f32_e32 v20, v20, v22
	v_add_f32_e32 v22, v28, v35
	v_mul_u32_u24_e32 v28, 56, v41
	v_mul_f32_e32 v29, 0x3ee1c552, v29
	v_add_f32_e32 v21, v19, v42
	v_sub_f32_e32 v19, v31, v24
	v_or_b32_e32 v28, v28, v39
	v_add_f32_e32 v24, v29, v19
	v_sub_f32_e32 v23, v43, v23
	v_lshlrev_b32_e32 v28, 3, v28
	v_sub_f32_e32 v19, v21, v24
	v_add_f32_e32 v21, v24, v21
	v_sub_f32_e32 v25, v45, v32
	v_add_f32_e32 v24, v33, v44
	ds_write2_b64 v28, v[16:17], v[22:23] offset1:8
	ds_write2_b64 v28, v[24:25], v[20:21] offset0:16 offset1:24
	ds_write2_b64 v28, v[18:19], v[26:27] offset0:32 offset1:40
	ds_write_b64 v28, v[12:13] offset:384
.LBB0_11:
	s_or_b64 exec, exec, s[6:7]
	v_lshlrev_b32_e32 v24, 5, v38
	s_load_dwordx4 s[4:7], s[4:5], 0x0
	s_waitcnt lgkmcnt(0)
	; wave barrier
	s_waitcnt lgkmcnt(0)
	global_load_dwordx4 v[20:23], v24, s[2:3] offset:384
	global_load_dwordx4 v[16:19], v24, s[2:3] offset:400
	ds_read2_b64 v[28:31], v37 offset1:56
	ds_read2_b64 v[32:35], v37 offset0:112 offset1:168
	ds_read_b64 v[24:25], v37 offset:1792
	s_waitcnt vmcnt(1) lgkmcnt(2)
	v_mul_f32_e32 v42, v31, v21
	v_mul_f32_e32 v43, v30, v21
	s_waitcnt lgkmcnt(1)
	v_mul_f32_e32 v44, v33, v23
	v_mul_f32_e32 v45, v32, v23
	s_waitcnt vmcnt(0)
	v_mul_f32_e32 v46, v35, v17
	v_mul_f32_e32 v47, v34, v17
	s_waitcnt lgkmcnt(0)
	v_mul_f32_e32 v48, v25, v19
	v_mul_f32_e32 v49, v24, v19
	v_fma_f32 v30, v30, v20, -v42
	v_fmac_f32_e32 v43, v31, v20
	v_fma_f32 v32, v32, v22, -v44
	v_fmac_f32_e32 v45, v33, v22
	;; [unrolled: 2-line block ×4, first 2 shown]
	v_add_f32_e32 v34, v28, v30
	v_add_f32_e32 v24, v32, v33
	;; [unrolled: 1-line block ×6, first 2 shown]
	v_sub_f32_e32 v35, v30, v32
	v_sub_f32_e32 v48, v42, v33
	;; [unrolled: 1-line block ×4, first 2 shown]
	v_fma_f32 v24, -0.5, v24, v28
	v_fma_f32 v25, -0.5, v25, v29
	v_fma_f32 v30, -0.5, v31, v28
	v_fma_f32 v31, -0.5, v51, v29
	v_add_f32_e32 v28, v34, v32
	v_add_f32_e32 v29, v53, v45
	v_sub_f32_e32 v44, v43, v49
	v_sub_f32_e32 v46, v45, v47
	;; [unrolled: 1-line block ×4, first 2 shown]
	v_add_f32_e32 v48, v35, v48
	v_add_f32_e32 v32, v28, v33
	v_mov_b32_e32 v34, v24
	v_mov_b32_e32 v28, v30
	v_add_f32_e32 v33, v29, v47
	v_mov_b32_e32 v35, v25
	v_mov_b32_e32 v29, v31
	v_sub_f32_e32 v56, v43, v45
	v_sub_f32_e32 v57, v49, v47
	v_sub_f32_e32 v43, v45, v43
	v_sub_f32_e32 v58, v47, v49
	v_fmac_f32_e32 v24, 0xbf737871, v44
	v_fmac_f32_e32 v30, 0x3f737871, v46
	;; [unrolled: 1-line block ×8, first 2 shown]
	v_add_f32_e32 v50, v50, v52
	v_add_f32_e32 v45, v56, v57
	;; [unrolled: 1-line block ×3, first 2 shown]
	v_fmac_f32_e32 v24, 0xbf167918, v46
	v_fmac_f32_e32 v30, 0xbf167918, v44
	;; [unrolled: 1-line block ×8, first 2 shown]
	v_add_f32_e32 v32, v32, v42
	v_add_f32_e32 v33, v33, v49
	v_fmac_f32_e32 v24, 0x3e9e377a, v48
	v_fmac_f32_e32 v30, 0x3e9e377a, v50
	;; [unrolled: 1-line block ×8, first 2 shown]
	ds_write_b64 v37, v[24:25] offset:1792
	ds_write2_b64 v37, v[32:33], v[34:35] offset1:56
	ds_write2_b64 v37, v[28:29], v[30:31] offset0:112 offset1:168
	s_waitcnt lgkmcnt(0)
	; wave barrier
	s_waitcnt lgkmcnt(0)
	s_and_saveexec_b64 s[2:3], vcc
	s_cbranch_execz .LBB0_13
; %bb.12:
	ds_read_b64 v[42:43], v37
	global_load_dwordx2 v[44:45], v37, s[14:15] offset:2240
	s_add_u32 s8, s14, 0x8c0
	s_addc_u32 s9, s15, 0
	s_waitcnt vmcnt(0) lgkmcnt(0)
	v_mul_f32_e32 v46, v43, v45
	v_mul_f32_e32 v47, v42, v45
	v_fma_f32 v46, v42, v44, -v46
	v_fmac_f32_e32 v47, v43, v44
	ds_write_b64 v37, v[46:47]
	global_load_dwordx2 v[46:47], v37, s[8:9] offset:280
	ds_read2_b64 v[42:45], v37 offset0:35 offset1:70
	s_waitcnt vmcnt(0) lgkmcnt(0)
	v_mul_f32_e32 v48, v43, v47
	v_mul_f32_e32 v49, v42, v47
	v_fma_f32 v48, v42, v46, -v48
	v_fmac_f32_e32 v49, v43, v46
	global_load_dwordx2 v[42:43], v37, s[8:9] offset:560
	s_waitcnt vmcnt(0)
	v_mul_f32_e32 v46, v45, v43
	v_mul_f32_e32 v47, v44, v43
	v_fma_f32 v46, v44, v42, -v46
	v_fmac_f32_e32 v47, v45, v42
	ds_write2_b64 v37, v[48:49], v[46:47] offset0:35 offset1:70
	global_load_dwordx2 v[46:47], v37, s[8:9] offset:840
	ds_read2_b64 v[42:45], v37 offset0:105 offset1:140
	s_waitcnt vmcnt(0) lgkmcnt(0)
	v_mul_f32_e32 v48, v43, v47
	v_mul_f32_e32 v49, v42, v47
	v_fma_f32 v48, v42, v46, -v48
	v_fmac_f32_e32 v49, v43, v46
	global_load_dwordx2 v[42:43], v37, s[8:9] offset:1120
	s_waitcnt vmcnt(0)
	v_mul_f32_e32 v46, v45, v43
	v_mul_f32_e32 v47, v44, v43
	v_fma_f32 v46, v44, v42, -v46
	v_fmac_f32_e32 v47, v45, v42
	ds_write2_b64 v37, v[48:49], v[46:47] offset0:105 offset1:140
	global_load_dwordx2 v[46:47], v37, s[8:9] offset:1400
	ds_read2_b64 v[42:45], v37 offset0:175 offset1:210
	s_waitcnt vmcnt(0) lgkmcnt(0)
	v_mul_f32_e32 v48, v43, v47
	v_mul_f32_e32 v49, v42, v47
	v_fma_f32 v48, v42, v46, -v48
	v_fmac_f32_e32 v49, v43, v46
	global_load_dwordx2 v[42:43], v37, s[8:9] offset:1680
	s_waitcnt vmcnt(0)
	v_mul_f32_e32 v46, v45, v43
	v_mul_f32_e32 v47, v44, v43
	v_fma_f32 v46, v44, v42, -v46
	v_fmac_f32_e32 v47, v45, v42
	ds_read_b64 v[42:43], v37 offset:1960
	global_load_dwordx2 v[44:45], v37, s[8:9] offset:1960
	ds_write2_b64 v37, v[48:49], v[46:47] offset0:175 offset1:210
	s_waitcnt vmcnt(0) lgkmcnt(1)
	v_mul_f32_e32 v46, v43, v45
	v_mul_f32_e32 v47, v42, v45
	v_fma_f32 v46, v42, v44, -v46
	v_fmac_f32_e32 v47, v43, v44
	ds_write_b64 v37, v[46:47] offset:1960
.LBB0_13:
	s_or_b64 exec, exec, s[2:3]
	s_waitcnt lgkmcnt(0)
	; wave barrier
	s_waitcnt lgkmcnt(0)
	s_and_saveexec_b64 s[2:3], vcc
	s_cbranch_execz .LBB0_15
; %bb.14:
	ds_read2_b64 v[32:35], v37 offset1:35
	ds_read2_b64 v[28:31], v37 offset0:70 offset1:105
	ds_read2_b64 v[24:27], v37 offset0:140 offset1:175
	;; [unrolled: 1-line block ×3, first 2 shown]
.LBB0_15:
	s_or_b64 exec, exec, s[2:3]
	s_waitcnt lgkmcnt(1)
	v_sub_f32_e32 v24, v32, v24
	v_sub_f32_e32 v25, v33, v25
	s_waitcnt lgkmcnt(0)
	v_sub_f32_e32 v12, v28, v12
	v_sub_f32_e32 v13, v29, v13
	;; [unrolled: 1-line block ×6, first 2 shown]
	v_fma_f32 v32, v32, 2.0, -v24
	v_fma_f32 v33, v33, 2.0, -v25
	;; [unrolled: 1-line block ×8, first 2 shown]
	v_add_f32_e32 v42, v13, v24
	v_sub_f32_e32 v43, v25, v12
	v_sub_f32_e32 v28, v32, v28
	;; [unrolled: 1-line block ×3, first 2 shown]
	v_fma_f32 v44, v24, 2.0, -v42
	v_fma_f32 v45, v25, 2.0, -v43
	v_sub_f32_e32 v30, v34, v30
	v_sub_f32_e32 v31, v35, v31
	v_add_f32_e32 v46, v15, v26
	v_sub_f32_e32 v47, v27, v14
	v_fma_f32 v32, v32, 2.0, -v28
	v_fma_f32 v33, v33, 2.0, -v29
	;; [unrolled: 1-line block ×6, first 2 shown]
	v_mov_b32_e32 v26, v44
	v_mov_b32_e32 v27, v45
	;; [unrolled: 1-line block ×4, first 2 shown]
	v_sub_f32_e32 v24, v32, v12
	v_sub_f32_e32 v25, v33, v13
	v_fmac_f32_e32 v26, 0xbf3504f3, v14
	v_fmac_f32_e32 v27, 0xbf3504f3, v15
	;; [unrolled: 1-line block ×4, first 2 shown]
	v_fma_f32 v12, v32, 2.0, -v24
	v_fma_f32 v13, v33, 2.0, -v25
	v_fmac_f32_e32 v26, 0x3f3504f3, v15
	v_fmac_f32_e32 v27, 0xbf3504f3, v14
	v_add_f32_e32 v32, v31, v28
	v_sub_f32_e32 v33, v29, v30
	v_fmac_f32_e32 v34, 0x3f3504f3, v47
	v_fmac_f32_e32 v35, 0xbf3504f3, v46
	v_fma_f32 v14, v44, 2.0, -v26
	v_fma_f32 v15, v45, 2.0, -v27
	;; [unrolled: 1-line block ×6, first 2 shown]
	s_waitcnt lgkmcnt(0)
	; wave barrier
	s_and_saveexec_b64 s[2:3], vcc
	s_cbranch_execz .LBB0_17
; %bb.16:
	v_lshlrev_b32_e32 v40, 3, v40
	ds_write_b128 v40, v[12:15]
	ds_write_b128 v40, v[28:31] offset:16
	ds_write_b128 v40, v[24:27] offset:32
	;; [unrolled: 1-line block ×3, first 2 shown]
.LBB0_17:
	s_or_b64 exec, exec, s[2:3]
	s_waitcnt lgkmcnt(0)
	; wave barrier
	s_waitcnt lgkmcnt(0)
	s_and_saveexec_b64 s[2:3], s[0:1]
	s_cbranch_execz .LBB0_19
; %bb.18:
	ds_read2_b64 v[12:15], v37 offset1:40
	ds_read2_b64 v[28:31], v37 offset0:80 offset1:120
	ds_read2_b64 v[24:27], v37 offset0:160 offset1:200
	ds_read_b64 v[32:33], v37 offset:1920
.LBB0_19:
	s_or_b64 exec, exec, s[2:3]
	s_waitcnt lgkmcnt(0)
	; wave barrier
	s_waitcnt lgkmcnt(0)
	s_and_saveexec_b64 s[2:3], s[0:1]
	s_cbranch_execz .LBB0_21
; %bb.20:
	v_mul_f32_e32 v34, v1, v15
	v_mul_f32_e32 v35, v11, v33
	;; [unrolled: 1-line block ×4, first 2 shown]
	v_fmac_f32_e32 v34, v0, v14
	v_fmac_f32_e32 v35, v10, v32
	v_mul_f32_e32 v43, v5, v31
	v_fma_f32 v10, v10, v33, -v11
	v_fma_f32 v11, v0, v15, -v1
	v_mul_f32_e32 v0, v5, v30
	v_fmac_f32_e32 v43, v4, v30
	v_fma_f32 v4, v4, v31, -v0
	v_mul_f32_e32 v0, v7, v24
	v_fma_f32 v5, v6, v25, -v0
	v_add_f32_e32 v14, v10, v11
	v_add_f32_e32 v0, v5, v4
	v_mul_f32_e32 v42, v7, v25
	v_sub_f32_e32 v1, v14, v0
	v_fmac_f32_e32 v42, v6, v24
	v_mul_f32_e32 v6, 0x3f4a47b2, v1
	v_mul_f32_e32 v1, v9, v26
	;; [unrolled: 1-line block ×3, first 2 shown]
	v_fma_f32 v7, v8, v27, -v1
	v_mul_f32_e32 v1, v3, v28
	v_fmac_f32_e32 v46, v2, v28
	v_mul_f32_e32 v47, v9, v27
	v_fma_f32 v2, v2, v29, -v1
	v_fmac_f32_e32 v47, v8, v26
	v_add_f32_e32 v8, v7, v2
	v_sub_f32_e32 v1, v0, v8
	v_mov_b32_e32 v3, v6
	v_mul_f32_e32 v9, 0x3d64c772, v1
	v_fmac_f32_e32 v3, 0x3d64c772, v1
	v_add_f32_e32 v1, v8, v14
	v_add_f32_e32 v0, v0, v1
	v_add_f32_e32 v1, v13, v0
	v_mov_b32_e32 v13, v1
	v_fmac_f32_e32 v13, 0xbf955555, v0
	v_add_f32_e32 v24, v35, v34
	v_add_f32_e32 v0, v42, v43
	v_sub_f32_e32 v25, v24, v0
	v_mul_f32_e32 v25, 0x3f4a47b2, v25
	v_add_f32_e32 v26, v47, v46
	v_sub_f32_e32 v27, v0, v26
	v_mov_b32_e32 v29, v25
	v_mul_f32_e32 v28, 0x3d64c772, v27
	v_fmac_f32_e32 v29, 0x3d64c772, v27
	v_add_f32_e32 v27, v26, v24
	v_add_f32_e32 v27, v0, v27
	;; [unrolled: 1-line block ×3, first 2 shown]
	v_sub_f32_e32 v40, v34, v35
	v_sub_f32_e32 v48, v46, v47
	v_mov_b32_e32 v12, v0
	v_sub_f32_e32 v4, v5, v4
	v_sub_f32_e32 v7, v2, v7
	;; [unrolled: 1-line block ×3, first 2 shown]
	v_fmac_f32_e32 v12, 0xbf955555, v27
	v_sub_f32_e32 v10, v11, v10
	v_sub_f32_e32 v2, v4, v7
	;; [unrolled: 1-line block ×4, first 2 shown]
	v_add_f32_e32 v27, v29, v12
	v_sub_f32_e32 v11, v10, v4
	v_mul_f32_e32 v29, 0x3f08b237, v2
	v_add_f32_e32 v2, v4, v7
	v_mul_f32_e32 v4, 0xbf5ff5aa, v32
	s_mov_b32 s1, 0x3eae86e6
	v_sub_f32_e32 v8, v8, v14
	s_mov_b32 s8, 0xbf3bfb3b
	v_fma_f32 v33, v45, s1, -v4
	v_fma_f32 v4, v8, s8, -v6
	v_sub_f32_e32 v6, v26, v24
	v_add_f32_e32 v31, v2, v10
	v_add_f32_e32 v14, v4, v13
	v_fma_f32 v4, v6, s8, -v25
	v_sub_f32_e32 v10, v7, v10
	v_sub_f32_e32 v49, v44, v48
	v_add_f32_e32 v24, v4, v12
	v_mul_f32_e32 v4, 0xbf5ff5aa, v10
	v_mul_f32_e32 v49, 0x3f08b237, v49
	v_add_f32_e32 v44, v44, v48
	s_mov_b32 s0, 0xbf5ff5aa
	v_fma_f32 v25, v11, s1, -v4
	s_mov_b32 s1, 0x3f3bfb3b
	v_add_f32_e32 v44, v44, v40
	v_mov_b32_e32 v30, v29
	v_fma_f32 v7, v8, s1, -v9
	v_fma_f32 v9, v32, s0, -v49
	v_fma_f32 v10, v10, s0, -v29
	v_fma_f32 v6, v6, s1, -v28
	v_mov_b32_e32 v50, v49
	v_fmac_f32_e32 v30, 0xbeae86e6, v11
	v_fmac_f32_e32 v33, 0xbee1c552, v44
	v_add_f32_e32 v8, v7, v13
	v_fmac_f32_e32 v9, 0xbee1c552, v44
	v_fmac_f32_e32 v10, 0xbee1c552, v31
	v_add_f32_e32 v11, v6, v12
	v_fmac_f32_e32 v50, 0xbeae86e6, v45
	v_add_f32_e32 v5, v33, v14
	v_sub_f32_e32 v7, v8, v9
	v_add_f32_e32 v6, v10, v11
	v_add_f32_e32 v9, v9, v8
	v_sub_f32_e32 v8, v11, v10
	v_sub_f32_e32 v11, v14, v33
	v_mul_u32_u24_e32 v14, 56, v41
	v_fmac_f32_e32 v50, 0xbee1c552, v44
	v_add_f32_e32 v15, v3, v13
	v_fmac_f32_e32 v30, 0xbee1c552, v31
	v_or_b32_e32 v14, v14, v39
	v_fmac_f32_e32 v25, 0xbee1c552, v31
	v_sub_f32_e32 v13, v15, v50
	v_add_f32_e32 v12, v30, v27
	v_lshlrev_b32_e32 v14, 3, v14
	v_add_f32_e32 v3, v50, v15
	v_sub_f32_e32 v2, v27, v30
	v_sub_f32_e32 v4, v24, v25
	v_add_f32_e32 v10, v25, v24
	ds_write2_b64 v14, v[0:1], v[12:13] offset1:8
	ds_write2_b64 v14, v[10:11], v[8:9] offset0:16 offset1:24
	ds_write2_b64 v14, v[6:7], v[4:5] offset0:32 offset1:40
	ds_write_b64 v14, v[2:3] offset:384
.LBB0_21:
	s_or_b64 exec, exec, s[2:3]
	s_waitcnt lgkmcnt(0)
	; wave barrier
	s_waitcnt lgkmcnt(0)
	ds_read2_b64 v[0:3], v37 offset1:56
	ds_read2_b64 v[4:7], v37 offset0:112 offset1:168
	ds_read_b64 v[8:9], v37 offset:1792
	s_waitcnt lgkmcnt(2)
	v_mul_f32_e32 v10, v21, v3
	v_fmac_f32_e32 v10, v20, v2
	v_mul_f32_e32 v2, v21, v2
	v_fma_f32 v11, v20, v3, -v2
	s_waitcnt lgkmcnt(1)
	v_mul_f32_e32 v12, v23, v5
	v_mul_f32_e32 v2, v23, v4
	;; [unrolled: 1-line block ×3, first 2 shown]
	v_fmac_f32_e32 v12, v22, v4
	v_fma_f32 v13, v22, v5, -v2
	v_fmac_f32_e32 v14, v16, v6
	v_mul_f32_e32 v2, v17, v6
	v_fma_f32 v15, v16, v7, -v2
	s_waitcnt lgkmcnt(0)
	v_mul_f32_e32 v2, v19, v8
	v_add_f32_e32 v3, v12, v14
	v_mul_f32_e32 v7, v19, v9
	v_fma_f32 v16, v18, v9, -v2
	v_fma_f32 v4, -0.5, v3, v0
	v_fmac_f32_e32 v7, v18, v8
	v_sub_f32_e32 v3, v11, v16
	v_mov_b32_e32 v6, v4
	v_fmac_f32_e32 v6, 0xbf737871, v3
	v_sub_f32_e32 v5, v13, v15
	v_sub_f32_e32 v8, v10, v12
	;; [unrolled: 1-line block ×3, first 2 shown]
	v_fmac_f32_e32 v4, 0x3f737871, v3
	v_fmac_f32_e32 v6, 0xbf167918, v5
	v_add_f32_e32 v8, v8, v9
	v_fmac_f32_e32 v4, 0x3f167918, v5
	v_fmac_f32_e32 v6, 0x3e9e377a, v8
	;; [unrolled: 1-line block ×3, first 2 shown]
	v_add_f32_e32 v8, v10, v7
	v_add_f32_e32 v2, v0, v10
	v_fma_f32 v0, -0.5, v8, v0
	v_mov_b32_e32 v8, v0
	v_add_f32_e32 v2, v2, v12
	v_fmac_f32_e32 v8, 0x3f737871, v5
	v_fmac_f32_e32 v0, 0xbf737871, v5
	v_add_f32_e32 v5, v13, v15
	v_add_f32_e32 v2, v2, v14
	v_sub_f32_e32 v9, v12, v10
	v_sub_f32_e32 v17, v14, v7
	v_fma_f32 v5, -0.5, v5, v1
	v_add_f32_e32 v2, v2, v7
	v_fmac_f32_e32 v8, 0xbf167918, v3
	v_add_f32_e32 v9, v9, v17
	v_fmac_f32_e32 v0, 0x3f167918, v3
	v_sub_f32_e32 v10, v10, v7
	v_mov_b32_e32 v7, v5
	v_fmac_f32_e32 v8, 0x3e9e377a, v9
	v_fmac_f32_e32 v0, 0x3e9e377a, v9
	;; [unrolled: 1-line block ×3, first 2 shown]
	v_sub_f32_e32 v12, v12, v14
	v_sub_f32_e32 v9, v11, v13
	;; [unrolled: 1-line block ×3, first 2 shown]
	v_fmac_f32_e32 v5, 0xbf737871, v10
	v_fmac_f32_e32 v7, 0x3f167918, v12
	v_add_f32_e32 v9, v9, v14
	v_fmac_f32_e32 v5, 0xbf167918, v12
	v_fmac_f32_e32 v7, 0x3e9e377a, v9
	;; [unrolled: 1-line block ×3, first 2 shown]
	v_add_f32_e32 v9, v11, v16
	v_add_f32_e32 v3, v1, v11
	v_fma_f32 v1, -0.5, v9, v1
	v_add_f32_e32 v3, v3, v13
	v_mov_b32_e32 v9, v1
	v_add_f32_e32 v3, v3, v15
	v_fmac_f32_e32 v9, 0xbf737871, v12
	v_sub_f32_e32 v11, v13, v11
	v_sub_f32_e32 v13, v15, v16
	v_fmac_f32_e32 v1, 0x3f737871, v12
	v_add_f32_e32 v3, v3, v16
	v_fmac_f32_e32 v9, 0x3f167918, v10
	v_add_f32_e32 v11, v11, v13
	v_fmac_f32_e32 v1, 0xbf167918, v10
	v_fmac_f32_e32 v9, 0x3e9e377a, v11
	;; [unrolled: 1-line block ×3, first 2 shown]
	ds_write2_b64 v37, v[2:3], v[6:7] offset1:56
	ds_write2_b64 v37, v[8:9], v[0:1] offset0:112 offset1:168
	ds_write_b64 v37, v[4:5] offset:1792
	s_waitcnt lgkmcnt(0)
	; wave barrier
	s_waitcnt lgkmcnt(0)
	s_and_b64 exec, exec, vcc
	s_cbranch_execz .LBB0_23
; %bb.22:
	global_load_dwordx2 v[8:9], v37, s[14:15]
	global_load_dwordx2 v[10:11], v37, s[14:15] offset:280
	global_load_dwordx2 v[12:13], v37, s[14:15] offset:560
	;; [unrolled: 1-line block ×5, first 2 shown]
	ds_read_b64 v[26:27], v37 offset:1960
	ds_read_b64 v[20:21], v37
	ds_read2_b64 v[0:3], v37 offset0:35 offset1:70
	ds_read2_b64 v[4:7], v37 offset0:105 offset1:140
	global_load_dwordx2 v[28:29], v37, s[14:15] offset:1680
	global_load_dwordx2 v[30:31], v37, s[14:15] offset:1960
	v_mad_u64_u32 v[18:19], s[0:1], s6, v36, 0
	v_mad_u64_u32 v[22:23], s[2:3], s4, v38, 0
	s_mul_i32 s2, s5, 0x118
	s_mul_hi_u32 s3, s4, 0x118
	s_add_i32 s6, s3, s2
	s_waitcnt lgkmcnt(2)
	v_mad_u64_u32 v[32:33], s[2:3], s7, v36, v[19:20]
	v_mov_b32_e32 v35, s13
	s_mulk_i32 s4, 0x118
	v_mov_b32_e32 v19, v32
	v_lshlrev_b64 v[18:19], 3, v[18:19]
	v_mov_b32_e32 v39, s6
	v_add_co_u32_e32 v18, vcc, s12, v18
	v_addc_co_u32_e32 v19, vcc, v35, v19, vcc
	s_mov_b32 s0, 0x1d41d41d
	s_mov_b32 s1, 0x3f6d41d4
	v_mov_b32_e32 v36, s6
	s_waitcnt vmcnt(6) lgkmcnt(1)
	v_mul_f32_e32 v35, v1, v11
	v_mul_f32_e32 v11, v0, v11
	v_fmac_f32_e32 v35, v0, v10
	s_waitcnt vmcnt(3) lgkmcnt(0)
	v_mul_f32_e32 v40, v7, v17
	s_waitcnt vmcnt(2)
	v_mad_u64_u32 v[33:34], s[2:3], s5, v38, v[23:24]
	v_mov_b32_e32 v34, s6
	v_mul_f32_e32 v38, v3, v13
	v_mov_b32_e32 v23, v33
	v_lshlrev_b64 v[22:23], 3, v[22:23]
	v_mul_f32_e32 v13, v2, v13
	v_add_co_u32_e32 v18, vcc, v18, v22
	v_addc_co_u32_e32 v19, vcc, v19, v23, vcc
	v_add_co_u32_e32 v22, vcc, s4, v18
	v_addc_co_u32_e32 v23, vcc, v19, v39, vcc
	;; [unrolled: 2-line block ×3, first 2 shown]
	v_mul_f32_e32 v34, v21, v9
	v_mul_f32_e32 v9, v20, v9
	v_fmac_f32_e32 v34, v20, v8
	v_fma_f32 v8, v8, v21, -v9
	v_mul_f32_e32 v39, v5, v15
	v_mul_f32_e32 v15, v4, v15
	v_fma_f32 v9, v10, v1, -v11
	v_fmac_f32_e32 v38, v2, v12
	v_fma_f32 v12, v12, v3, -v13
	v_cvt_f64_f32_e32 v[0:1], v34
	v_cvt_f64_f32_e32 v[2:3], v8
	v_fmac_f32_e32 v39, v4, v14
	v_fma_f32 v20, v14, v5, -v15
	v_cvt_f64_f32_e32 v[4:5], v35
	v_cvt_f64_f32_e32 v[8:9], v9
	;; [unrolled: 1-line block ×4, first 2 shown]
	v_mul_f64 v[0:1], v[0:1], s[0:1]
	v_mul_f64 v[2:3], v[2:3], s[0:1]
	v_cvt_f64_f32_e32 v[14:15], v39
	v_cvt_f64_f32_e32 v[20:21], v20
	v_mul_f64 v[4:5], v[4:5], s[0:1]
	v_mul_f64 v[8:9], v[8:9], s[0:1]
	;; [unrolled: 1-line block ×6, first 2 shown]
	v_cvt_f32_f64_e32 v0, v[0:1]
	v_cvt_f32_f64_e32 v1, v[2:3]
	;; [unrolled: 1-line block ×6, first 2 shown]
	v_mul_f32_e32 v17, v6, v17
	v_fmac_f32_e32 v40, v6, v16
	global_store_dwordx2 v[18:19], v[0:1], off
	global_store_dwordx2 v[22:23], v[2:3], off
	;; [unrolled: 1-line block ×3, first 2 shown]
	v_fma_f32 v0, v16, v7, -v17
	v_cvt_f64_f32_e32 v[34:35], v40
	v_cvt_f32_f64_e32 v8, v[14:15]
	v_cvt_f32_f64_e32 v9, v[20:21]
	v_cvt_f64_f32_e32 v[4:5], v0
	ds_read2_b64 v[0:3], v37 offset0:175 offset1:210
	v_add_co_u32_e32 v6, vcc, s4, v32
	v_addc_co_u32_e32 v7, vcc, v33, v36, vcc
	global_store_dwordx2 v[6:7], v[8:9], off
	v_mul_f64 v[8:9], v[34:35], s[0:1]
	v_mul_f64 v[4:5], v[4:5], s[0:1]
	s_waitcnt lgkmcnt(0)
	v_mul_f32_e32 v10, v1, v25
	v_fmac_f32_e32 v10, v0, v24
	v_mul_f32_e32 v0, v0, v25
	v_fma_f32 v0, v24, v1, -v0
	v_cvt_f64_f32_e32 v[10:11], v10
	v_cvt_f64_f32_e32 v[0:1], v0
	v_cvt_f32_f64_e32 v8, v[8:9]
	v_cvt_f32_f64_e32 v9, v[4:5]
	v_mul_f64 v[4:5], v[10:11], s[0:1]
	v_mul_f64 v[0:1], v[0:1], s[0:1]
	v_mov_b32_e32 v10, s6
	v_add_co_u32_e32 v6, vcc, s4, v6
	v_addc_co_u32_e32 v7, vcc, v7, v10, vcc
	global_store_dwordx2 v[6:7], v[8:9], off
	v_cvt_f32_f64_e32 v4, v[4:5]
	v_cvt_f32_f64_e32 v5, v[0:1]
	s_waitcnt vmcnt(6)
	v_mul_f32_e32 v0, v3, v29
	v_fmac_f32_e32 v0, v2, v28
	v_mul_f32_e32 v2, v2, v29
	v_fma_f32 v2, v28, v3, -v2
	v_cvt_f64_f32_e32 v[0:1], v0
	v_cvt_f64_f32_e32 v[2:3], v2
	v_mov_b32_e32 v8, s6
	v_add_co_u32_e32 v6, vcc, s4, v6
	v_mul_f64 v[0:1], v[0:1], s[0:1]
	v_mul_f64 v[2:3], v[2:3], s[0:1]
	v_addc_co_u32_e32 v7, vcc, v7, v8, vcc
	global_store_dwordx2 v[6:7], v[4:5], off
	s_waitcnt vmcnt(6)
	v_mul_f32_e32 v4, v27, v31
	v_mul_f32_e32 v8, v26, v31
	v_fmac_f32_e32 v4, v26, v30
	v_fma_f32 v8, v30, v27, -v8
	v_cvt_f64_f32_e32 v[4:5], v4
	v_cvt_f64_f32_e32 v[8:9], v8
	v_cvt_f32_f64_e32 v0, v[0:1]
	v_cvt_f32_f64_e32 v1, v[2:3]
	v_mul_f64 v[2:3], v[4:5], s[0:1]
	v_mul_f64 v[4:5], v[8:9], s[0:1]
	v_mov_b32_e32 v8, s6
	v_add_co_u32_e32 v6, vcc, s4, v6
	v_addc_co_u32_e32 v7, vcc, v7, v8, vcc
	global_store_dwordx2 v[6:7], v[0:1], off
	v_cvt_f32_f64_e32 v0, v[2:3]
	v_cvt_f32_f64_e32 v1, v[4:5]
	v_mov_b32_e32 v3, s6
	v_add_co_u32_e32 v2, vcc, s4, v6
	v_addc_co_u32_e32 v3, vcc, v7, v3, vcc
	global_store_dwordx2 v[2:3], v[0:1], off
.LBB0_23:
	s_endpgm
	.section	.rodata,"a",@progbits
	.p2align	6, 0x0
	.amdhsa_kernel bluestein_single_fwd_len280_dim1_sp_op_CI_CI
		.amdhsa_group_segment_fixed_size 2240
		.amdhsa_private_segment_fixed_size 0
		.amdhsa_kernarg_size 104
		.amdhsa_user_sgpr_count 6
		.amdhsa_user_sgpr_private_segment_buffer 1
		.amdhsa_user_sgpr_dispatch_ptr 0
		.amdhsa_user_sgpr_queue_ptr 0
		.amdhsa_user_sgpr_kernarg_segment_ptr 1
		.amdhsa_user_sgpr_dispatch_id 0
		.amdhsa_user_sgpr_flat_scratch_init 0
		.amdhsa_user_sgpr_private_segment_size 0
		.amdhsa_uses_dynamic_stack 0
		.amdhsa_system_sgpr_private_segment_wavefront_offset 0
		.amdhsa_system_sgpr_workgroup_id_x 1
		.amdhsa_system_sgpr_workgroup_id_y 0
		.amdhsa_system_sgpr_workgroup_id_z 0
		.amdhsa_system_sgpr_workgroup_info 0
		.amdhsa_system_vgpr_workitem_id 0
		.amdhsa_next_free_vgpr 59
		.amdhsa_next_free_sgpr 16
		.amdhsa_reserve_vcc 1
		.amdhsa_reserve_flat_scratch 0
		.amdhsa_float_round_mode_32 0
		.amdhsa_float_round_mode_16_64 0
		.amdhsa_float_denorm_mode_32 3
		.amdhsa_float_denorm_mode_16_64 3
		.amdhsa_dx10_clamp 1
		.amdhsa_ieee_mode 1
		.amdhsa_fp16_overflow 0
		.amdhsa_exception_fp_ieee_invalid_op 0
		.amdhsa_exception_fp_denorm_src 0
		.amdhsa_exception_fp_ieee_div_zero 0
		.amdhsa_exception_fp_ieee_overflow 0
		.amdhsa_exception_fp_ieee_underflow 0
		.amdhsa_exception_fp_ieee_inexact 0
		.amdhsa_exception_int_div_zero 0
	.end_amdhsa_kernel
	.text
.Lfunc_end0:
	.size	bluestein_single_fwd_len280_dim1_sp_op_CI_CI, .Lfunc_end0-bluestein_single_fwd_len280_dim1_sp_op_CI_CI
                                        ; -- End function
	.section	.AMDGPU.csdata,"",@progbits
; Kernel info:
; codeLenInByte = 5400
; NumSgprs: 20
; NumVgprs: 59
; ScratchSize: 0
; MemoryBound: 0
; FloatMode: 240
; IeeeMode: 1
; LDSByteSize: 2240 bytes/workgroup (compile time only)
; SGPRBlocks: 2
; VGPRBlocks: 14
; NumSGPRsForWavesPerEU: 20
; NumVGPRsForWavesPerEU: 59
; Occupancy: 4
; WaveLimiterHint : 1
; COMPUTE_PGM_RSRC2:SCRATCH_EN: 0
; COMPUTE_PGM_RSRC2:USER_SGPR: 6
; COMPUTE_PGM_RSRC2:TRAP_HANDLER: 0
; COMPUTE_PGM_RSRC2:TGID_X_EN: 1
; COMPUTE_PGM_RSRC2:TGID_Y_EN: 0
; COMPUTE_PGM_RSRC2:TGID_Z_EN: 0
; COMPUTE_PGM_RSRC2:TIDIG_COMP_CNT: 0
	.type	__hip_cuid_4ce23cb55c429461,@object ; @__hip_cuid_4ce23cb55c429461
	.section	.bss,"aw",@nobits
	.globl	__hip_cuid_4ce23cb55c429461
__hip_cuid_4ce23cb55c429461:
	.byte	0                               ; 0x0
	.size	__hip_cuid_4ce23cb55c429461, 1

	.ident	"AMD clang version 19.0.0git (https://github.com/RadeonOpenCompute/llvm-project roc-6.4.0 25133 c7fe45cf4b819c5991fe208aaa96edf142730f1d)"
	.section	".note.GNU-stack","",@progbits
	.addrsig
	.addrsig_sym __hip_cuid_4ce23cb55c429461
	.amdgpu_metadata
---
amdhsa.kernels:
  - .args:
      - .actual_access:  read_only
        .address_space:  global
        .offset:         0
        .size:           8
        .value_kind:     global_buffer
      - .actual_access:  read_only
        .address_space:  global
        .offset:         8
        .size:           8
        .value_kind:     global_buffer
      - .actual_access:  read_only
        .address_space:  global
        .offset:         16
        .size:           8
        .value_kind:     global_buffer
      - .actual_access:  read_only
        .address_space:  global
        .offset:         24
        .size:           8
        .value_kind:     global_buffer
      - .actual_access:  read_only
        .address_space:  global
        .offset:         32
        .size:           8
        .value_kind:     global_buffer
      - .offset:         40
        .size:           8
        .value_kind:     by_value
      - .address_space:  global
        .offset:         48
        .size:           8
        .value_kind:     global_buffer
      - .address_space:  global
        .offset:         56
        .size:           8
        .value_kind:     global_buffer
      - .address_space:  global
        .offset:         64
        .size:           8
        .value_kind:     global_buffer
      - .address_space:  global
        .offset:         72
        .size:           8
        .value_kind:     global_buffer
      - .offset:         80
        .size:           4
        .value_kind:     by_value
      - .address_space:  global
        .offset:         88
        .size:           8
        .value_kind:     global_buffer
      - .address_space:  global
        .offset:         96
        .size:           8
        .value_kind:     global_buffer
    .group_segment_fixed_size: 2240
    .kernarg_segment_align: 8
    .kernarg_segment_size: 104
    .language:       OpenCL C
    .language_version:
      - 2
      - 0
    .max_flat_workgroup_size: 56
    .name:           bluestein_single_fwd_len280_dim1_sp_op_CI_CI
    .private_segment_fixed_size: 0
    .sgpr_count:     20
    .sgpr_spill_count: 0
    .symbol:         bluestein_single_fwd_len280_dim1_sp_op_CI_CI.kd
    .uniform_work_group_size: 1
    .uses_dynamic_stack: false
    .vgpr_count:     59
    .vgpr_spill_count: 0
    .wavefront_size: 64
amdhsa.target:   amdgcn-amd-amdhsa--gfx906
amdhsa.version:
  - 1
  - 2
...

	.end_amdgpu_metadata
